;; amdgpu-corpus repo=ROCm/rocFFT kind=compiled arch=gfx1030 opt=O3
	.text
	.amdgcn_target "amdgcn-amd-amdhsa--gfx1030"
	.amdhsa_code_object_version 6
	.protected	fft_rtc_back_len396_factors_11_9_4_wgs_44_tpt_44_dp_op_CI_CI_sbrr_dirReg ; -- Begin function fft_rtc_back_len396_factors_11_9_4_wgs_44_tpt_44_dp_op_CI_CI_sbrr_dirReg
	.globl	fft_rtc_back_len396_factors_11_9_4_wgs_44_tpt_44_dp_op_CI_CI_sbrr_dirReg
	.p2align	8
	.type	fft_rtc_back_len396_factors_11_9_4_wgs_44_tpt_44_dp_op_CI_CI_sbrr_dirReg,@function
fft_rtc_back_len396_factors_11_9_4_wgs_44_tpt_44_dp_op_CI_CI_sbrr_dirReg: ; @fft_rtc_back_len396_factors_11_9_4_wgs_44_tpt_44_dp_op_CI_CI_sbrr_dirReg
; %bb.0:
	s_clause 0x2
	s_load_dwordx4 s[16:19], s[4:5], 0x18
	s_load_dwordx4 s[12:15], s[4:5], 0x0
	;; [unrolled: 1-line block ×3, first 2 shown]
	v_mul_u32_u24_e32 v1, 0x5d2, v0
	v_mov_b32_e32 v3, 0
	s_waitcnt lgkmcnt(0)
	s_load_dwordx2 s[20:21], s[16:17], 0x0
	s_load_dwordx2 s[2:3], s[18:19], 0x0
	v_cmp_lt_u64_e64 s0, s[14:15], 2
	v_add_nc_u32_sdwa v5, s6, v1 dst_sel:DWORD dst_unused:UNUSED_PAD src0_sel:DWORD src1_sel:WORD_1
	v_mov_b32_e32 v1, 0
	v_mov_b32_e32 v6, v3
	;; [unrolled: 1-line block ×3, first 2 shown]
	s_and_b32 vcc_lo, exec_lo, s0
	s_cbranch_vccnz .LBB0_8
; %bb.1:
	s_load_dwordx2 s[0:1], s[4:5], 0x10
	v_mov_b32_e32 v1, 0
	v_mov_b32_e32 v2, 0
	s_add_u32 s6, s18, 8
	s_addc_u32 s7, s19, 0
	s_add_u32 s22, s16, 8
	s_addc_u32 s23, s17, 0
	v_mov_b32_e32 v53, v2
	v_mov_b32_e32 v52, v1
	s_mov_b64 s[26:27], 1
	s_waitcnt lgkmcnt(0)
	s_add_u32 s24, s0, 8
	s_addc_u32 s25, s1, 0
.LBB0_2:                                ; =>This Inner Loop Header: Depth=1
	s_load_dwordx2 s[28:29], s[24:25], 0x0
                                        ; implicit-def: $vgpr54_vgpr55
	s_mov_b32 s0, exec_lo
	s_waitcnt lgkmcnt(0)
	v_or_b32_e32 v4, s29, v6
	v_cmpx_ne_u64_e32 0, v[3:4]
	s_xor_b32 s1, exec_lo, s0
	s_cbranch_execz .LBB0_4
; %bb.3:                                ;   in Loop: Header=BB0_2 Depth=1
	v_cvt_f32_u32_e32 v4, s28
	v_cvt_f32_u32_e32 v7, s29
	s_sub_u32 s0, 0, s28
	s_subb_u32 s30, 0, s29
	v_fmac_f32_e32 v4, 0x4f800000, v7
	v_rcp_f32_e32 v4, v4
	v_mul_f32_e32 v4, 0x5f7ffffc, v4
	v_mul_f32_e32 v7, 0x2f800000, v4
	v_trunc_f32_e32 v7, v7
	v_fmac_f32_e32 v4, 0xcf800000, v7
	v_cvt_u32_f32_e32 v7, v7
	v_cvt_u32_f32_e32 v4, v4
	v_mul_lo_u32 v8, s0, v7
	v_mul_hi_u32 v9, s0, v4
	v_mul_lo_u32 v10, s30, v4
	v_add_nc_u32_e32 v8, v9, v8
	v_mul_lo_u32 v9, s0, v4
	v_add_nc_u32_e32 v8, v8, v10
	v_mul_hi_u32 v10, v4, v9
	v_mul_lo_u32 v11, v4, v8
	v_mul_hi_u32 v12, v4, v8
	v_mul_hi_u32 v13, v7, v9
	v_mul_lo_u32 v9, v7, v9
	v_mul_hi_u32 v14, v7, v8
	v_mul_lo_u32 v8, v7, v8
	v_add_co_u32 v10, vcc_lo, v10, v11
	v_add_co_ci_u32_e32 v11, vcc_lo, 0, v12, vcc_lo
	v_add_co_u32 v9, vcc_lo, v10, v9
	v_add_co_ci_u32_e32 v9, vcc_lo, v11, v13, vcc_lo
	v_add_co_ci_u32_e32 v10, vcc_lo, 0, v14, vcc_lo
	v_add_co_u32 v8, vcc_lo, v9, v8
	v_add_co_ci_u32_e32 v9, vcc_lo, 0, v10, vcc_lo
	v_add_co_u32 v4, vcc_lo, v4, v8
	v_add_co_ci_u32_e32 v7, vcc_lo, v7, v9, vcc_lo
	v_mul_hi_u32 v8, s0, v4
	v_mul_lo_u32 v10, s30, v4
	v_mul_lo_u32 v9, s0, v7
	v_add_nc_u32_e32 v8, v8, v9
	v_mul_lo_u32 v9, s0, v4
	v_add_nc_u32_e32 v8, v8, v10
	v_mul_hi_u32 v10, v4, v9
	v_mul_lo_u32 v11, v4, v8
	v_mul_hi_u32 v12, v4, v8
	v_mul_hi_u32 v13, v7, v9
	v_mul_lo_u32 v9, v7, v9
	v_mul_hi_u32 v14, v7, v8
	v_mul_lo_u32 v8, v7, v8
	v_add_co_u32 v10, vcc_lo, v10, v11
	v_add_co_ci_u32_e32 v11, vcc_lo, 0, v12, vcc_lo
	v_add_co_u32 v9, vcc_lo, v10, v9
	v_add_co_ci_u32_e32 v9, vcc_lo, v11, v13, vcc_lo
	v_add_co_ci_u32_e32 v10, vcc_lo, 0, v14, vcc_lo
	v_add_co_u32 v8, vcc_lo, v9, v8
	v_add_co_ci_u32_e32 v9, vcc_lo, 0, v10, vcc_lo
	v_add_co_u32 v4, vcc_lo, v4, v8
	v_add_co_ci_u32_e32 v11, vcc_lo, v7, v9, vcc_lo
	v_mul_hi_u32 v13, v5, v4
	v_mad_u64_u32 v[9:10], null, v6, v4, 0
	v_mad_u64_u32 v[7:8], null, v5, v11, 0
	v_mad_u64_u32 v[11:12], null, v6, v11, 0
	v_add_co_u32 v4, vcc_lo, v13, v7
	v_add_co_ci_u32_e32 v7, vcc_lo, 0, v8, vcc_lo
	v_add_co_u32 v4, vcc_lo, v4, v9
	v_add_co_ci_u32_e32 v4, vcc_lo, v7, v10, vcc_lo
	v_add_co_ci_u32_e32 v7, vcc_lo, 0, v12, vcc_lo
	v_add_co_u32 v4, vcc_lo, v4, v11
	v_add_co_ci_u32_e32 v9, vcc_lo, 0, v7, vcc_lo
	v_mul_lo_u32 v10, s29, v4
	v_mad_u64_u32 v[7:8], null, s28, v4, 0
	v_mul_lo_u32 v11, s28, v9
	v_sub_co_u32 v7, vcc_lo, v5, v7
	v_add3_u32 v8, v8, v11, v10
	v_sub_nc_u32_e32 v10, v6, v8
	v_subrev_co_ci_u32_e64 v10, s0, s29, v10, vcc_lo
	v_add_co_u32 v11, s0, v4, 2
	v_add_co_ci_u32_e64 v12, s0, 0, v9, s0
	v_sub_co_u32 v13, s0, v7, s28
	v_sub_co_ci_u32_e32 v8, vcc_lo, v6, v8, vcc_lo
	v_subrev_co_ci_u32_e64 v10, s0, 0, v10, s0
	v_cmp_le_u32_e32 vcc_lo, s28, v13
	v_cmp_eq_u32_e64 s0, s29, v8
	v_cndmask_b32_e64 v13, 0, -1, vcc_lo
	v_cmp_le_u32_e32 vcc_lo, s29, v10
	v_cndmask_b32_e64 v14, 0, -1, vcc_lo
	v_cmp_le_u32_e32 vcc_lo, s28, v7
	;; [unrolled: 2-line block ×3, first 2 shown]
	v_cndmask_b32_e64 v15, 0, -1, vcc_lo
	v_cmp_eq_u32_e32 vcc_lo, s29, v10
	v_cndmask_b32_e64 v7, v15, v7, s0
	v_cndmask_b32_e32 v10, v14, v13, vcc_lo
	v_add_co_u32 v13, vcc_lo, v4, 1
	v_add_co_ci_u32_e32 v14, vcc_lo, 0, v9, vcc_lo
	v_cmp_ne_u32_e32 vcc_lo, 0, v10
	v_cndmask_b32_e32 v8, v14, v12, vcc_lo
	v_cndmask_b32_e32 v10, v13, v11, vcc_lo
	v_cmp_ne_u32_e32 vcc_lo, 0, v7
	v_cndmask_b32_e32 v55, v9, v8, vcc_lo
	v_cndmask_b32_e32 v54, v4, v10, vcc_lo
.LBB0_4:                                ;   in Loop: Header=BB0_2 Depth=1
	s_andn2_saveexec_b32 s0, s1
	s_cbranch_execz .LBB0_6
; %bb.5:                                ;   in Loop: Header=BB0_2 Depth=1
	v_cvt_f32_u32_e32 v4, s28
	s_sub_i32 s1, 0, s28
	v_mov_b32_e32 v55, v3
	v_rcp_iflag_f32_e32 v4, v4
	v_mul_f32_e32 v4, 0x4f7ffffe, v4
	v_cvt_u32_f32_e32 v4, v4
	v_mul_lo_u32 v7, s1, v4
	v_mul_hi_u32 v7, v4, v7
	v_add_nc_u32_e32 v4, v4, v7
	v_mul_hi_u32 v4, v5, v4
	v_mul_lo_u32 v7, v4, s28
	v_add_nc_u32_e32 v8, 1, v4
	v_sub_nc_u32_e32 v7, v5, v7
	v_subrev_nc_u32_e32 v9, s28, v7
	v_cmp_le_u32_e32 vcc_lo, s28, v7
	v_cndmask_b32_e32 v7, v7, v9, vcc_lo
	v_cndmask_b32_e32 v4, v4, v8, vcc_lo
	v_cmp_le_u32_e32 vcc_lo, s28, v7
	v_add_nc_u32_e32 v8, 1, v4
	v_cndmask_b32_e32 v54, v4, v8, vcc_lo
.LBB0_6:                                ;   in Loop: Header=BB0_2 Depth=1
	s_or_b32 exec_lo, exec_lo, s0
	v_mul_lo_u32 v4, v55, s28
	v_mul_lo_u32 v9, v54, s29
	s_load_dwordx2 s[0:1], s[22:23], 0x0
	v_mad_u64_u32 v[7:8], null, v54, s28, 0
	s_load_dwordx2 s[28:29], s[6:7], 0x0
	s_add_u32 s26, s26, 1
	s_addc_u32 s27, s27, 0
	s_add_u32 s6, s6, 8
	s_addc_u32 s7, s7, 0
	s_add_u32 s22, s22, 8
	v_add3_u32 v4, v8, v9, v4
	v_sub_co_u32 v5, vcc_lo, v5, v7
	s_addc_u32 s23, s23, 0
	s_add_u32 s24, s24, 8
	v_sub_co_ci_u32_e32 v4, vcc_lo, v6, v4, vcc_lo
	s_addc_u32 s25, s25, 0
	s_waitcnt lgkmcnt(0)
	v_mul_lo_u32 v6, s0, v4
	v_mul_lo_u32 v7, s1, v5
	v_mad_u64_u32 v[1:2], null, s0, v5, v[1:2]
	v_mul_lo_u32 v4, s28, v4
	v_mul_lo_u32 v8, s29, v5
	v_mad_u64_u32 v[52:53], null, s28, v5, v[52:53]
	v_cmp_ge_u64_e64 s0, s[26:27], s[14:15]
	v_add3_u32 v2, v7, v2, v6
	v_add3_u32 v53, v8, v53, v4
	s_and_b32 vcc_lo, exec_lo, s0
	s_cbranch_vccnz .LBB0_9
; %bb.7:                                ;   in Loop: Header=BB0_2 Depth=1
	v_mov_b32_e32 v5, v54
	v_mov_b32_e32 v6, v55
	s_branch .LBB0_2
.LBB0_8:
	v_mov_b32_e32 v53, v2
	v_mov_b32_e32 v55, v6
	;; [unrolled: 1-line block ×4, first 2 shown]
.LBB0_9:
	s_load_dwordx2 s[0:1], s[4:5], 0x28
	v_mul_hi_u32 v3, 0x5d1745e, v0
	s_lshl_b64 s[6:7], s[14:15], 3
                                        ; implicit-def: $vgpr136
	s_add_u32 s4, s18, s6
	s_addc_u32 s5, s19, s7
	s_waitcnt lgkmcnt(0)
	v_cmp_gt_u64_e32 vcc_lo, s[0:1], v[54:55]
	v_cmp_le_u64_e64 s0, s[0:1], v[54:55]
	s_and_saveexec_b32 s1, s0
	s_xor_b32 s0, exec_lo, s1
; %bb.10:
	v_mul_u32_u24_e32 v1, 44, v3
                                        ; implicit-def: $vgpr3
	v_sub_nc_u32_e32 v136, v0, v1
                                        ; implicit-def: $vgpr0
                                        ; implicit-def: $vgpr1_vgpr2
; %bb.11:
	s_andn2_saveexec_b32 s1, s0
	s_cbranch_execz .LBB0_13
; %bb.12:
	s_add_u32 s6, s16, s6
	s_addc_u32 s7, s17, s7
	v_mul_u32_u24_e32 v3, 44, v3
	s_load_dwordx2 s[6:7], s[6:7], 0x0
	v_lshlrev_b64 v[1:2], 4, v[1:2]
	v_sub_nc_u32_e32 v136, v0, v3
	v_mad_u64_u32 v[3:4], null, s20, v136, 0
	v_add_nc_u32_e32 v15, 44, v136
	v_add_nc_u32_e32 v16, 0x58, v136
	;; [unrolled: 1-line block ×5, first 2 shown]
	v_mad_u64_u32 v[5:6], null, s20, v15, 0
	v_mov_b32_e32 v0, v4
	v_mad_u64_u32 v[7:8], null, s20, v16, 0
	s_waitcnt lgkmcnt(0)
	v_mul_lo_u32 v4, s7, v54
	v_mul_lo_u32 v18, s6, v55
	v_mad_u64_u32 v[11:12], null, s6, v54, 0
	v_mad_u64_u32 v[9:10], null, s20, v17, 0
	;; [unrolled: 1-line block ×3, first 2 shown]
	v_mov_b32_e32 v0, v6
	v_mov_b32_e32 v6, v8
	v_add3_u32 v12, v12, v18, v4
	v_add_nc_u32_e32 v26, 0x108, v136
	v_mov_b32_e32 v8, v10
	v_mad_u64_u32 v[14:15], null, s21, v15, v[0:1]
	v_lshlrev_b64 v[10:11], 4, v[11:12]
	v_mad_u64_u32 v[15:16], null, s21, v16, v[6:7]
	v_mov_b32_e32 v4, v13
	v_mad_u64_u32 v[12:13], null, s21, v17, v[8:9]
	v_add_co_u32 v0, s0, s8, v10
	v_mov_b32_e32 v6, v14
	v_add_co_ci_u32_e64 v10, s0, s9, v11, s0
	v_lshlrev_b64 v[3:4], 4, v[3:4]
	v_mov_b32_e32 v8, v15
	v_add_co_u32 v32, s0, v0, v1
	v_mad_u64_u32 v[16:17], null, s20, v19, 0
	v_add_co_ci_u32_e64 v33, s0, v10, v2, s0
	v_lshlrev_b64 v[0:1], 4, v[5:6]
	v_mov_b32_e32 v10, v12
	v_add_co_u32 v2, s0, v32, v3
	v_lshlrev_b64 v[13:14], 4, v[7:8]
	v_add_co_ci_u32_e64 v3, s0, v33, v4, s0
	v_lshlrev_b64 v[9:10], 4, v[9:10]
	v_add_co_u32 v4, s0, v32, v0
	v_mov_b32_e32 v8, v17
	v_add_co_ci_u32_e64 v5, s0, v33, v1, s0
	v_add_co_u32 v11, s0, v32, v13
	v_add_co_ci_u32_e64 v12, s0, v33, v14, s0
	v_mad_u64_u32 v[13:14], null, s21, v19, v[8:9]
	v_mad_u64_u32 v[18:19], null, s20, v24, 0
	;; [unrolled: 1-line block ×3, first 2 shown]
	v_add_co_u32 v14, s0, v32, v9
	v_add_nc_u32_e32 v28, 0x134, v136
	v_add_nc_u32_e32 v29, 0x160, v136
	v_mov_b32_e32 v8, v19
	v_mov_b32_e32 v17, v13
	;; [unrolled: 1-line block ×3, first 2 shown]
	v_mad_u64_u32 v[22:23], null, s20, v28, 0
	v_add_co_ci_u32_e64 v15, s0, v33, v10, s0
	v_mad_u64_u32 v[24:25], null, s21, v24, v[8:9]
	v_mad_u64_u32 v[25:26], null, s21, v26, v[9:10]
	;; [unrolled: 1-line block ×3, first 2 shown]
	v_lshlrev_b64 v[16:17], 4, v[16:17]
	s_clause 0x1
	global_load_dwordx4 v[0:3], v[2:3], off
	global_load_dwordx4 v[4:7], v[4:5], off
	v_mov_b32_e32 v19, v24
	v_mad_u64_u32 v[23:24], null, s21, v28, v[23:24]
	v_mov_b32_e32 v21, v25
	v_mov_b32_e32 v24, v27
	v_lshlrev_b64 v[18:19], 4, v[18:19]
	v_add_co_u32 v16, s0, v32, v16
	v_lshlrev_b64 v[20:21], 4, v[20:21]
	v_mad_u64_u32 v[24:25], null, s21, v29, v[24:25]
	v_add_co_ci_u32_e64 v17, s0, v33, v17, s0
	v_add_co_u32 v28, s0, v32, v18
	v_add_co_ci_u32_e64 v29, s0, v33, v19, s0
	v_mov_b32_e32 v27, v24
	v_lshlrev_b64 v[18:19], 4, v[22:23]
	v_add_co_u32 v24, s0, v32, v20
	v_add_co_ci_u32_e64 v25, s0, v33, v21, s0
	v_lshlrev_b64 v[20:21], 4, v[26:27]
	v_add_co_u32 v30, s0, v32, v18
	v_add_co_ci_u32_e64 v31, s0, v33, v19, s0
	s_clause 0x1
	global_load_dwordx4 v[8:11], v[11:12], off
	global_load_dwordx4 v[12:15], v[14:15], off
	v_add_co_u32 v32, s0, v32, v20
	v_add_co_ci_u32_e64 v33, s0, v33, v21, s0
	s_clause 0x4
	global_load_dwordx4 v[16:19], v[16:17], off
	global_load_dwordx4 v[20:23], v[28:29], off
	;; [unrolled: 1-line block ×5, first 2 shown]
	v_lshl_add_u32 v36, v136, 4, 0
	s_waitcnt vmcnt(8)
	ds_write_b128 v36, v[0:3]
	s_waitcnt vmcnt(7)
	ds_write_b128 v36, v[4:7] offset:704
	s_waitcnt vmcnt(6)
	ds_write_b128 v36, v[8:11] offset:1408
	;; [unrolled: 2-line block ×8, first 2 shown]
.LBB0_13:
	s_or_b32 exec_lo, exec_lo, s1
	v_lshl_add_u32 v137, v136, 4, 0
	s_waitcnt lgkmcnt(0)
	s_barrier
	buffer_gl0_inv
	s_mov_b32 s14, 0xf8bb580b
	ds_read_b128 v[8:11], v137 offset:5760
	ds_read_b128 v[36:39], v137 offset:576
	;; [unrolled: 1-line block ×4, first 2 shown]
	ds_read_b128 v[20:23], v137
	s_mov_b32 s6, 0x8764f0ba
	s_mov_b32 s8, 0xd9c712b6
	;; [unrolled: 1-line block ×7, first 2 shown]
	ds_read_b128 v[44:47], v137 offset:1728
	ds_read_b128 v[16:19], v137 offset:4608
	s_mov_b32 s18, 0x7f775887
	s_mov_b32 s20, 0xbb3a28a1
	;; [unrolled: 1-line block ×4, first 2 shown]
	ds_read_b128 v[24:27], v137 offset:4032
	ds_read_b128 v[48:51], v137 offset:2304
	s_mov_b32 s22, 0x640f44db
	s_mov_b32 s26, 0x43842ef
	s_waitcnt lgkmcnt(7)
	v_add_f64 v[130:131], v[38:39], -v[10:11]
	v_add_f64 v[88:89], v[38:39], v[10:11]
	s_waitcnt lgkmcnt(5)
	v_add_f64 v[106:107], v[42:43], -v[14:15]
	v_add_f64 v[60:61], v[42:43], v[14:15]
	v_add_f64 v[96:97], v[36:37], v[8:9]
	v_add_f64 v[132:133], v[36:37], -v[8:9]
	v_add_f64 v[116:117], v[40:41], v[12:13]
	v_add_f64 v[134:135], v[40:41], -v[12:13]
	s_mov_b32 s24, 0x9bcd5057
	s_mov_b32 s36, 0xfd768dbf
	;; [unrolled: 1-line block ×3, first 2 shown]
	s_waitcnt lgkmcnt(2)
	v_add_f64 v[100:101], v[46:47], -v[18:19]
	v_add_f64 v[84:85], v[46:47], v[18:19]
	s_mov_b32 s27, 0xbfefac9e
	s_mov_b32 s25, 0xbfeeb42a
	;; [unrolled: 1-line block ×3, first 2 shown]
	v_add_f64 v[94:95], v[44:45], v[16:17]
	v_add_f64 v[110:111], v[44:45], -v[16:17]
	s_waitcnt lgkmcnt(0)
	v_add_f64 v[66:67], v[50:51], -v[26:27]
	v_add_f64 v[56:57], v[50:51], v[26:27]
	ds_read_b128 v[32:35], v137 offset:2880
	ds_read_b128 v[28:31], v137 offset:3456
	s_mov_b32 s35, 0x3fefac9e
	v_mul_f64 v[90:91], v[130:131], s[14:15]
	v_mul_f64 v[98:99], v[88:89], s[6:7]
	;; [unrolled: 1-line block ×8, first 2 shown]
	s_mov_b32 s34, s26
	v_add_f64 v[62:63], v[48:49], v[24:25]
	v_add_f64 v[104:105], v[48:49], -v[24:25]
	v_mul_f64 v[70:71], v[100:101], s[26:27]
	v_mul_f64 v[108:109], v[84:85], s[22:23]
	;; [unrolled: 1-line block ×4, first 2 shown]
	s_mov_b32 s31, 0xbfd207e7
	s_mov_b32 s29, 0x3fe14ced
	;; [unrolled: 1-line block ×3, first 2 shown]
	s_waitcnt lgkmcnt(0)
	v_add_f64 v[78:79], v[34:35], -v[30:31]
	v_add_f64 v[58:59], v[34:35], v[30:31]
	v_mul_f64 v[68:69], v[66:67], s[20:21]
	v_mul_f64 v[80:81], v[56:57], s[18:19]
	v_fma_f64 v[0:1], v[96:97], s[6:7], -v[90:91]
	v_fma_f64 v[2:3], v[132:133], s[14:15], v[98:99]
	v_fma_f64 v[4:5], v[96:97], s[8:9], -v[126:127]
	v_fma_f64 v[6:7], v[132:133], s[16:17], v[128:129]
	v_fma_f64 v[64:65], v[116:117], s[8:9], -v[120:121]
	v_fma_f64 v[72:73], v[134:135], s[16:17], v[122:123]
	v_fma_f64 v[76:77], v[116:117], s[18:19], -v[114:115]
	v_fma_f64 v[82:83], v[134:135], s[20:21], v[124:125]
	v_mul_f64 v[74:75], v[66:67], s[34:35]
	v_mul_f64 v[92:93], v[56:57], s[22:23]
	s_mov_b32 s28, s14
	v_fma_f64 v[138:139], v[94:95], s[22:23], -v[70:71]
	v_fma_f64 v[140:141], v[110:111], s[26:27], v[108:109]
	v_fma_f64 v[142:143], v[94:95], s[24:25], -v[112:113]
	v_fma_f64 v[144:145], v[110:111], s[36:37], v[118:119]
	v_add_f64 v[102:103], v[32:33], -v[28:29]
	s_mov_b32 s1, exec_lo
	s_barrier
	v_mul_f64 v[86:87], v[58:59], s[6:7]
	v_fma_f64 v[146:147], v[62:63], s[18:19], -v[68:69]
	v_fma_f64 v[148:149], v[104:105], s[20:21], v[80:81]
	v_add_f64 v[0:1], v[20:21], v[0:1]
	v_add_f64 v[2:3], v[22:23], v[2:3]
	;; [unrolled: 1-line block ×4, first 2 shown]
	buffer_gl0_inv
	v_fma_f64 v[150:151], v[62:63], s[22:23], -v[74:75]
	v_fma_f64 v[152:153], v[104:105], s[34:35], v[92:93]
	v_add_f64 v[0:1], v[64:65], v[0:1]
	v_add_f64 v[2:3], v[72:73], v[2:3]
	;; [unrolled: 1-line block ×5, first 2 shown]
	v_mul_f64 v[72:73], v[78:79], s[30:31]
	v_mul_f64 v[76:77], v[58:59], s[24:25]
	;; [unrolled: 1-line block ×3, first 2 shown]
	v_add_f64 v[0:1], v[138:139], v[0:1]
	v_add_f64 v[2:3], v[140:141], v[2:3]
	;; [unrolled: 1-line block ×4, first 2 shown]
	v_fma_f64 v[144:145], v[102:103], s[28:29], v[86:87]
	v_fma_f64 v[138:139], v[64:65], s[24:25], -v[72:73]
	v_fma_f64 v[140:141], v[102:103], s[30:31], v[76:77]
	v_fma_f64 v[142:143], v[64:65], s[6:7], -v[82:83]
	v_add_f64 v[0:1], v[146:147], v[0:1]
	v_add_f64 v[2:3], v[148:149], v[2:3]
	v_add_f64 v[146:147], v[150:151], v[4:5]
	v_add_f64 v[148:149], v[152:153], v[6:7]
	v_add_f64 v[4:5], v[138:139], v[0:1]
	v_add_f64 v[6:7], v[140:141], v[2:3]
	v_add_f64 v[0:1], v[142:143], v[146:147]
	v_add_f64 v[2:3], v[144:145], v[148:149]
	v_cmpx_gt_u32_e32 36, v136
	s_cbranch_execz .LBB0_15
; %bb.14:
	v_add_f64 v[36:37], v[20:21], v[36:37]
	v_add_f64 v[38:39], v[22:23], v[38:39]
	v_mul_f64 v[138:139], v[130:131], s[20:21]
	v_mul_f64 v[140:141], v[96:97], s[6:7]
	;; [unrolled: 1-line block ×11, first 2 shown]
	v_add_f64 v[36:37], v[36:37], v[40:41]
	v_add_f64 v[38:39], v[38:39], v[42:43]
	v_mul_f64 v[40:41], v[132:133], s[30:31]
	v_mul_f64 v[42:43], v[132:133], s[20:21]
	v_add_f64 v[90:91], v[140:141], v[90:91]
	v_mul_f64 v[140:141], v[110:111], s[20:21]
	v_add_f64 v[124:125], v[124:125], -v[148:149]
	v_add_f64 v[122:123], v[122:123], -v[134:135]
	v_mul_f64 v[134:135], v[110:111], s[14:15]
	v_add_f64 v[120:121], v[150:151], v[120:121]
	v_mul_f64 v[150:151], v[100:101], s[14:15]
	v_mul_f64 v[148:149], v[110:111], s[26:27]
	v_add_f64 v[36:37], v[36:37], v[44:45]
	v_add_f64 v[38:39], v[38:39], v[46:47]
	v_mul_f64 v[44:45], v[132:133], s[26:27]
	v_mul_f64 v[46:47], v[130:131], s[30:31]
	;; [unrolled: 1-line block ×3, first 2 shown]
	v_add_f64 v[108:109], v[108:109], -v[148:149]
	v_mul_f64 v[148:149], v[102:103], s[26:27]
	v_add_f64 v[36:37], v[36:37], v[48:49]
	v_add_f64 v[38:39], v[38:39], v[50:51]
	v_mul_f64 v[48:49], v[132:133], s[16:17]
	v_mul_f64 v[50:51], v[96:97], s[8:9]
	;; [unrolled: 1-line block ×3, first 2 shown]
	v_fma_f64 v[156:157], v[88:89], s[22:23], v[44:45]
	v_fma_f64 v[158:159], v[96:97], s[24:25], -v[46:47]
	v_fma_f64 v[44:45], v[88:89], s[22:23], -v[44:45]
	v_fma_f64 v[46:47], v[96:97], s[24:25], v[46:47]
	s_mov_b32 s17, 0x3fed1bb4
	v_add_f64 v[32:33], v[36:37], v[32:33]
	v_add_f64 v[34:35], v[38:39], v[34:35]
	v_fma_f64 v[36:37], v[88:89], s[24:25], v[40:41]
	v_fma_f64 v[38:39], v[88:89], s[24:25], -v[40:41]
	v_fma_f64 v[40:41], v[88:89], s[18:19], v[42:43]
	v_fma_f64 v[42:43], v[88:89], s[18:19], -v[42:43]
	v_add_f64 v[48:49], v[128:129], -v[48:49]
	v_fma_f64 v[88:89], v[96:97], s[18:19], -v[138:139]
	v_fma_f64 v[138:139], v[96:97], s[18:19], v[138:139]
	v_add_f64 v[50:51], v[50:51], v[126:127]
	v_fma_f64 v[126:127], v[96:97], s[22:23], -v[130:131]
	v_fma_f64 v[96:97], v[96:97], s[22:23], v[130:131]
	v_add_f64 v[98:99], v[98:99], -v[132:133]
	v_mul_f64 v[128:129], v[116:117], s[18:19]
	v_add_f64 v[158:159], v[20:21], v[158:159]
	v_add_f64 v[46:47], v[20:21], v[46:47]
	;; [unrolled: 1-line block ×4, first 2 shown]
	v_mul_f64 v[130:131], v[110:111], s[36:37]
	v_mul_f64 v[110:111], v[110:111], s[16:17]
	;; [unrolled: 1-line block ×3, first 2 shown]
	v_add_f64 v[28:29], v[32:33], v[28:29]
	v_add_f64 v[30:31], v[34:35], v[30:31]
	v_fma_f64 v[32:33], v[60:61], s[6:7], v[142:143]
	v_fma_f64 v[34:35], v[60:61], s[6:7], -v[142:143]
	v_fma_f64 v[142:143], v[60:61], s[22:23], v[144:145]
	v_fma_f64 v[144:145], v[60:61], s[22:23], -v[144:145]
	v_add_f64 v[36:37], v[22:23], v[36:37]
	v_add_f64 v[38:39], v[22:23], v[38:39]
	;; [unrolled: 1-line block ×12, first 2 shown]
	v_fma_f64 v[90:91], v[60:61], s[24:25], v[146:147]
	v_fma_f64 v[98:99], v[116:117], s[6:7], -v[152:153]
	v_fma_f64 v[60:61], v[60:61], s[24:25], -v[146:147]
	v_mul_f64 v[146:147], v[100:101], s[20:21]
	v_add_f64 v[24:25], v[28:29], v[24:25]
	v_fma_f64 v[28:29], v[116:117], s[22:23], -v[154:155]
	v_fma_f64 v[152:153], v[116:117], s[6:7], v[152:153]
	v_add_f64 v[26:27], v[30:31], v[26:27]
	v_fma_f64 v[30:31], v[116:117], s[22:23], v[154:155]
	v_fma_f64 v[154:155], v[116:117], s[24:25], -v[106:107]
	v_fma_f64 v[106:107], v[116:117], s[24:25], v[106:107]
	v_mul_f64 v[116:117], v[104:105], s[30:31]
	v_add_f64 v[114:115], v[128:129], v[114:115]
	v_mul_f64 v[128:129], v[66:67], s[30:31]
	v_add_f64 v[32:33], v[32:33], v[36:37]
	v_fma_f64 v[36:37], v[84:85], s[18:19], v[140:141]
	v_add_f64 v[34:35], v[34:35], v[38:39]
	v_fma_f64 v[140:141], v[84:85], s[18:19], -v[140:141]
	v_add_f64 v[40:41], v[142:143], v[40:41]
	v_fma_f64 v[142:143], v[84:85], s[6:7], v[134:135]
	v_mul_f64 v[100:101], v[100:101], s[16:17]
	v_add_f64 v[118:119], v[118:119], -v[130:131]
	v_mul_f64 v[130:131], v[94:95], s[22:23]
	v_add_f64 v[98:99], v[98:99], v[158:159]
	v_fma_f64 v[134:135], v[84:85], s[6:7], -v[134:135]
	v_fma_f64 v[38:39], v[94:95], s[18:19], -v[146:147]
	v_fma_f64 v[146:147], v[94:95], s[18:19], v[146:147]
	v_add_f64 v[28:29], v[28:29], v[88:89]
	v_fma_f64 v[88:89], v[94:95], s[6:7], -v[150:151]
	v_fma_f64 v[150:151], v[94:95], s[6:7], v[150:151]
	v_add_f64 v[22:23], v[122:123], v[22:23]
	v_mul_f64 v[158:159], v[104:105], s[16:17]
	v_add_f64 v[46:47], v[152:153], v[46:47]
	v_add_f64 v[112:113], v[132:133], v[112:113]
	v_mul_f64 v[132:133], v[62:63], s[18:19]
	v_add_f64 v[18:19], v[26:27], v[18:19]
	v_add_f64 v[20:21], v[120:121], v[20:21]
	;; [unrolled: 1-line block ×3, first 2 shown]
	v_mul_f64 v[144:145], v[104:105], s[34:35]
	v_add_f64 v[34:35], v[140:141], v[34:35]
	v_fma_f64 v[140:141], v[62:63], s[24:25], -v[128:129]
	v_add_f64 v[40:41], v[142:143], v[40:41]
	v_add_f64 v[30:31], v[30:31], v[138:139]
	v_mul_f64 v[138:139], v[62:63], s[22:23]
	v_add_f64 v[26:27], v[130:131], v[70:71]
	v_add_f64 v[48:49], v[124:125], v[48:49]
	;; [unrolled: 1-line block ×4, first 2 shown]
	v_fma_f64 v[98:99], v[56:57], s[24:25], v[116:117]
	v_mul_f64 v[152:153], v[66:67], s[16:17]
	v_add_f64 v[28:29], v[88:89], v[28:29]
	v_fma_f64 v[88:89], v[84:85], s[8:9], v[110:111]
	v_fma_f64 v[84:85], v[84:85], s[8:9], -v[110:111]
	v_fma_f64 v[110:111], v[94:95], s[8:9], -v[100:101]
	v_fma_f64 v[94:95], v[94:95], s[8:9], v[100:101]
	v_mul_f64 v[100:101], v[104:105], s[20:21]
	v_mul_f64 v[104:105], v[104:105], s[14:15]
	v_add_f64 v[44:45], v[60:61], v[44:45]
	v_add_f64 v[96:97], v[106:107], v[96:97]
	v_mul_f64 v[66:67], v[66:67], s[14:15]
	v_add_f64 v[90:91], v[90:91], v[156:157]
	v_add_f64 v[126:127], v[154:155], v[126:127]
	;; [unrolled: 1-line block ×3, first 2 shown]
	v_mul_f64 v[24:25], v[64:65], s[24:25]
	v_add_f64 v[22:23], v[108:109], v[22:23]
	v_add_f64 v[32:33], v[36:37], v[32:33]
	;; [unrolled: 1-line block ×3, first 2 shown]
	v_fma_f64 v[146:147], v[56:57], s[8:9], v[158:159]
	v_fma_f64 v[158:159], v[56:57], s[8:9], -v[158:159]
	v_add_f64 v[68:69], v[132:133], v[68:69]
	v_add_f64 v[40:41], v[98:99], v[40:41]
	;; [unrolled: 1-line block ×4, first 2 shown]
	v_mul_f64 v[28:29], v[102:103], s[30:31]
	v_mul_f64 v[70:71], v[64:65], s[6:7]
	;; [unrolled: 1-line block ×3, first 2 shown]
	v_add_f64 v[92:93], v[92:93], -v[144:145]
	v_add_f64 v[80:81], v[80:81], -v[100:101]
	v_add_f64 v[48:49], v[118:119], v[48:49]
	v_add_f64 v[74:75], v[138:139], v[74:75]
	;; [unrolled: 1-line block ×3, first 2 shown]
	v_mul_f64 v[36:37], v[78:79], s[26:27]
	v_mul_f64 v[156:157], v[102:103], s[16:17]
	;; [unrolled: 1-line block ×3, first 2 shown]
	v_add_f64 v[44:45], v[84:85], v[44:45]
	v_mul_f64 v[102:103], v[102:103], s[20:21]
	v_fma_f64 v[118:119], v[56:57], s[6:7], -v[104:105]
	v_mul_f64 v[78:79], v[78:79], s[20:21]
	v_fma_f64 v[124:125], v[62:63], s[6:7], v[66:67]
	v_add_f64 v[50:51], v[94:95], v[96:97]
	v_add_f64 v[42:43], v[134:135], v[42:43]
	v_fma_f64 v[116:117], v[56:57], s[24:25], -v[116:117]
	v_fma_f64 v[122:123], v[62:63], s[24:25], v[128:129]
	v_add_f64 v[30:31], v[150:151], v[30:31]
	v_fma_f64 v[142:143], v[62:63], s[8:9], -v[152:153]
	v_fma_f64 v[152:153], v[62:63], s[8:9], v[152:153]
	v_fma_f64 v[56:57], v[56:57], s[6:7], v[104:105]
	v_add_f64 v[88:89], v[88:89], v[90:91]
	v_fma_f64 v[62:63], v[62:63], s[6:7], -v[66:67]
	v_add_f64 v[66:67], v[110:111], v[126:127]
	v_add_f64 v[28:29], v[76:77], -v[28:29]
	v_add_f64 v[76:77], v[80:81], v[22:23]
	v_add_f64 v[24:25], v[24:25], v[72:73]
	;; [unrolled: 1-line block ×6, first 2 shown]
	v_fma_f64 v[84:85], v[58:59], s[22:23], v[148:149]
	v_fma_f64 v[120:121], v[58:59], s[22:23], -v[148:149]
	v_add_f64 v[20:21], v[68:69], v[20:21]
	v_add_f64 v[86:87], v[86:87], -v[106:107]
	v_add_f64 v[48:49], v[92:93], v[48:49]
	v_add_f64 v[70:71], v[70:71], v[82:83]
	;; [unrolled: 1-line block ×3, first 2 shown]
	v_fma_f64 v[94:95], v[58:59], s[18:19], -v[102:103]
	v_add_f64 v[44:45], v[118:119], v[44:45]
	v_fma_f64 v[96:97], v[64:65], s[18:19], v[78:79]
	v_add_f64 v[50:51], v[124:125], v[50:51]
	v_fma_f64 v[108:109], v[64:65], s[8:9], -v[60:61]
	v_fma_f64 v[90:91], v[58:59], s[8:9], -v[156:157]
	v_add_f64 v[42:43], v[116:117], v[42:43]
	v_fma_f64 v[60:61], v[64:65], s[8:9], v[60:61]
	v_add_f64 v[74:75], v[122:123], v[30:31]
	v_add_f64 v[46:47], v[152:153], v[46:47]
	v_fma_f64 v[114:115], v[64:65], s[22:23], -v[36:37]
	v_fma_f64 v[36:37], v[64:65], s[22:23], v[36:37]
	v_add_f64 v[38:39], v[142:143], v[38:39]
	v_fma_f64 v[100:101], v[58:59], s[8:9], v[156:157]
	v_fma_f64 v[58:59], v[58:59], s[18:19], v[102:103]
	v_add_f64 v[56:57], v[56:57], v[88:89]
	v_fma_f64 v[64:65], v[64:65], s[18:19], -v[78:79]
	v_add_f64 v[62:63], v[62:63], v[66:67]
	v_add_f64 v[10:11], v[72:73], v[10:11]
	v_add_f64 v[8:9], v[80:81], v[8:9]
	v_add_f64 v[14:15], v[84:85], v[32:33]
	v_add_f64 v[18:19], v[120:121], v[34:35]
	v_add_f64 v[34:35], v[28:29], v[76:77]
	v_add_f64 v[32:33], v[24:25], v[20:21]
	v_add_f64 v[30:31], v[86:87], v[48:49]
	v_add_f64 v[28:29], v[70:71], v[68:69]
	v_add_f64 v[26:27], v[94:95], v[44:45]
	v_add_f64 v[24:25], v[96:97], v[50:51]
	v_add_f64 v[22:23], v[90:91], v[42:43]
	v_mad_u32_u24 v44, 0xa0, v136, v137
	v_add_f64 v[20:21], v[60:61], v[74:75]
	v_add_f64 v[16:17], v[36:37], v[46:47]
	;; [unrolled: 1-line block ×7, first 2 shown]
	ds_write_b128 v44, v[8:11]
	ds_write_b128 v44, v[32:35] offset:16
	ds_write_b128 v44, v[28:31] offset:32
	;; [unrolled: 1-line block ×10, first 2 shown]
.LBB0_15:
	s_or_b32 exec_lo, exec_lo, s1
	v_and_b32_e32 v8, 0xff, v136
	s_load_dwordx2 s[4:5], s[4:5], 0x0
	s_waitcnt lgkmcnt(0)
	s_barrier
	buffer_gl0_inv
	v_mul_lo_u16 v8, 0x75, v8
	s_mov_b32 s6, 0x8c811c17
	s_mov_b32 s8, 0xa2cf5039
	;; [unrolled: 1-line block ×4, first 2 shown]
	v_lshrrev_b16 v8, 8, v8
	s_mov_b32 s7, 0x3fef838b
	s_mov_b32 s9, 0x3fe8836f
	;; [unrolled: 1-line block ×4, first 2 shown]
	v_sub_nc_u16 v9, v136, v8
	v_lshrrev_b16 v9, 1, v9
	v_and_b32_e32 v9, 0x7f, v9
	v_add_nc_u16 v8, v9, v8
	v_mov_b32_e32 v9, 7
	v_lshrrev_b16 v96, 3, v8
	v_mul_lo_u16 v8, v96, 11
	v_sub_nc_u16 v97, v136, v8
	v_lshlrev_b32_sdwa v36, v9, v97 dst_sel:DWORD dst_unused:UNUSED_PAD src0_sel:DWORD src1_sel:BYTE_0
	s_clause 0x7
	global_load_dwordx4 v[8:11], v36, s[12:13]
	global_load_dwordx4 v[12:15], v36, s[12:13] offset:112
	global_load_dwordx4 v[16:19], v36, s[12:13] offset:48
	;; [unrolled: 1-line block ×7, first 2 shown]
	ds_read_b128 v[40:43], v137 offset:704
	ds_read_b128 v[44:47], v137 offset:5632
	;; [unrolled: 1-line block ×8, first 2 shown]
	s_waitcnt vmcnt(7) lgkmcnt(7)
	v_mul_f64 v[76:77], v[42:43], v[10:11]
	v_mul_f64 v[10:11], v[40:41], v[10:11]
	s_waitcnt vmcnt(6) lgkmcnt(6)
	v_mul_f64 v[78:79], v[46:47], v[14:15]
	v_mul_f64 v[14:15], v[44:45], v[14:15]
	;; [unrolled: 3-line block ×6, first 2 shown]
	v_fma_f64 v[40:41], v[40:41], v[8:9], v[76:77]
	v_fma_f64 v[42:43], v[42:43], v[8:9], -v[10:11]
	ds_read_b128 v[8:11], v137
	v_fma_f64 v[44:45], v[44:45], v[12:13], v[78:79]
	v_fma_f64 v[12:13], v[46:47], v[12:13], -v[14:15]
	v_fma_f64 v[14:15], v[48:49], v[16:17], v[80:81]
	v_fma_f64 v[16:17], v[50:51], v[16:17], -v[18:19]
	;; [unrolled: 2-line block ×5, first 2 shown]
	s_waitcnt vmcnt(1) lgkmcnt(2)
	v_mul_f64 v[30:31], v[70:71], v[34:35]
	v_mul_f64 v[34:35], v[68:69], v[34:35]
	s_waitcnt vmcnt(0) lgkmcnt(1)
	v_mul_f64 v[46:47], v[74:75], v[38:39]
	v_mul_f64 v[38:39], v[72:73], v[38:39]
	s_waitcnt lgkmcnt(0)
	s_barrier
	buffer_gl0_inv
	v_add_f64 v[48:49], v[40:41], -v[44:45]
	v_add_f64 v[50:51], v[42:43], -v[12:13]
	v_add_f64 v[40:41], v[40:41], v[44:45]
	v_add_f64 v[12:13], v[42:43], v[12:13]
	;; [unrolled: 1-line block ×4, first 2 shown]
	v_add_f64 v[56:57], v[14:15], -v[18:19]
	v_add_f64 v[58:59], v[16:17], -v[20:21]
	v_add_f64 v[60:61], v[22:23], v[26:27]
	v_add_f64 v[62:63], v[24:25], v[28:29]
	v_fma_f64 v[30:31], v[68:69], v[32:33], v[30:31]
	v_fma_f64 v[32:33], v[70:71], v[32:33], -v[34:35]
	v_fma_f64 v[34:35], v[72:73], v[36:37], v[46:47]
	v_fma_f64 v[36:37], v[74:75], v[36:37], -v[38:39]
	v_add_f64 v[22:23], v[22:23], -v[26:27]
	v_add_f64 v[24:25], v[24:25], -v[28:29]
	v_mul_f64 v[26:27], v[48:49], s[0:1]
	v_mul_f64 v[28:29], v[50:51], s[0:1]
	v_fma_f64 v[38:39], v[40:41], s[8:9], v[8:9]
	v_fma_f64 v[46:47], v[12:13], s[8:9], v[10:11]
	s_mov_b32 s1, 0xbfe491b7
	v_fma_f64 v[64:65], v[42:43], s[8:9], v[8:9]
	v_fma_f64 v[66:67], v[44:45], s[8:9], v[10:11]
	v_mul_f64 v[68:69], v[56:57], s[6:7]
	v_mul_f64 v[70:71], v[58:59], s[6:7]
	v_fma_f64 v[72:73], v[60:61], s[8:9], v[8:9]
	v_fma_f64 v[74:75], v[62:63], s[8:9], v[10:11]
	v_mul_f64 v[76:77], v[58:59], s[0:1]
	v_mul_f64 v[78:79], v[56:57], s[0:1]
	v_add_f64 v[80:81], v[30:31], v[34:35]
	v_add_f64 v[82:83], v[32:33], v[36:37]
	;; [unrolled: 1-line block ×4, first 2 shown]
	v_add_f64 v[30:31], v[30:31], -v[34:35]
	v_add_f64 v[32:33], v[32:33], -v[36:37]
	s_mov_b32 s8, 0xe8584cab
	s_mov_b32 s9, 0x3febb67a
	v_fma_f64 v[26:27], v[22:23], s[6:7], v[26:27]
	v_fma_f64 v[28:29], v[24:25], s[6:7], v[28:29]
	;; [unrolled: 1-line block ×6, first 2 shown]
	v_fma_f64 v[64:65], v[22:23], s[0:1], -v[68:69]
	v_fma_f64 v[66:67], v[24:25], s[0:1], -v[70:71]
	v_fma_f64 v[68:69], v[42:43], s[14:15], v[72:73]
	v_fma_f64 v[70:71], v[44:45], s[14:15], v[74:75]
	;; [unrolled: 1-line block ×4, first 2 shown]
	v_add_f64 v[76:77], v[56:57], v[48:49]
	v_add_f64 v[78:79], v[58:59], v[50:51]
	;; [unrolled: 1-line block ×8, first 2 shown]
	s_mov_b32 s1, 0xbfebb67a
	s_mov_b32 s0, s8
	v_fma_f64 v[26:27], v[30:31], s[8:9], v[26:27]
	v_fma_f64 v[28:29], v[32:33], s[8:9], v[28:29]
	v_fma_f64 v[34:35], v[80:81], -0.5, v[34:35]
	v_fma_f64 v[36:37], v[82:83], -0.5, v[36:37]
	;; [unrolled: 1-line block ×4, first 2 shown]
	v_fma_f64 v[64:65], v[30:31], s[8:9], v[64:65]
	v_fma_f64 v[66:67], v[32:33], s[8:9], v[66:67]
	v_fma_f64 v[68:69], v[80:81], -0.5, v[68:69]
	v_fma_f64 v[70:71], v[82:83], -0.5, v[70:71]
	v_fma_f64 v[32:33], v[32:33], s[0:1], v[72:73]
	v_fma_f64 v[30:31], v[30:31], s[0:1], v[74:75]
	v_add_f64 v[72:73], v[76:77], -v[22:23]
	v_add_f64 v[74:75], v[78:79], -v[24:25]
	s_mov_b32 s6, 0x748a0bf8
	v_fma_f64 v[76:77], v[92:93], -0.5, v[88:89]
	s_mov_b32 s14, 0x42522d1b
	v_add_f64 v[14:15], v[14:15], v[84:85]
	v_add_f64 v[16:17], v[16:17], v[86:87]
	s_mov_b32 s7, 0x3fd5e3a8
	s_mov_b32 s15, 0xbfee11f6
	v_fma_f64 v[78:79], v[94:95], -0.5, v[90:91]
	v_fma_f64 v[56:57], v[56:57], s[6:7], v[26:27]
	v_fma_f64 v[58:59], v[58:59], s[6:7], v[28:29]
	;; [unrolled: 1-line block ×12, first 2 shown]
	v_mul_f64 v[30:31], v[72:73], s[8:9]
	v_mul_f64 v[32:33], v[74:75], s[8:9]
	v_fma_f64 v[12:13], v[74:75], s[0:1], v[76:77]
	v_cmp_gt_u32_e64 s0, 11, v136
	v_add_f64 v[50:51], v[18:19], v[14:15]
	v_add_f64 v[60:61], v[20:21], v[16:17]
	v_fma_f64 v[14:15], v[72:73], s[8:9], v[78:79]
	v_add_f64 v[16:17], v[26:27], -v[58:59]
	v_add_f64 v[18:19], v[56:57], v[28:29]
	v_add_f64 v[20:21], v[40:41], -v[42:43]
	v_add_f64 v[22:23], v[38:39], v[44:45]
	;; [unrolled: 2-line block ×3, first 2 shown]
	v_mov_b32_e32 v44, 0x630
	v_mov_b32_e32 v45, 4
	v_fma_f64 v[28:29], v[32:33], 2.0, v[12:13]
	v_add_f64 v[32:33], v[8:9], v[50:51]
	v_add_f64 v[34:35], v[10:11], v[60:61]
	v_mul_u32_u24_sdwa v44, v96, v44 dst_sel:DWORD dst_unused:UNUSED_PAD src0_sel:WORD_0 src1_sel:DWORD
	v_lshlrev_b32_sdwa v45, v45, v97 dst_sel:DWORD dst_unused:UNUSED_PAD src0_sel:DWORD src1_sel:BYTE_0
	v_fma_f64 v[30:31], v[30:31], -2.0, v[14:15]
	v_fma_f64 v[8:9], v[58:59], 2.0, v[16:17]
	v_fma_f64 v[10:11], v[56:57], -2.0, v[18:19]
	v_add3_u32 v44, 0, v44, v45
	v_fma_f64 v[36:37], v[42:43], 2.0, v[20:21]
	v_fma_f64 v[38:39], v[38:39], -2.0, v[22:23]
	v_fma_f64 v[40:41], v[46:47], 2.0, v[24:25]
	v_fma_f64 v[42:43], v[48:49], -2.0, v[26:27]
	ds_write_b128 v44, v[12:15] offset:528
	ds_write_b128 v44, v[32:35]
	ds_write_b128 v44, v[16:19] offset:176
	ds_write_b128 v44, v[20:23] offset:704
	ds_write_b128 v44, v[28:31] offset:1056
	ds_write_b128 v44, v[24:27] offset:352
	ds_write_b128 v44, v[36:39] offset:880
	ds_write_b128 v44, v[8:11] offset:1408
	ds_write_b128 v44, v[40:43] offset:1232
	s_waitcnt lgkmcnt(0)
	s_barrier
	buffer_gl0_inv
	ds_read_b128 v[16:19], v137
	ds_read_b128 v[20:23], v137 offset:704
	ds_read_b128 v[36:39], v137 offset:1584
	;; [unrolled: 1-line block ×7, first 2 shown]
                                        ; implicit-def: $vgpr14_vgpr15
	s_and_saveexec_b32 s1, s0
	s_cbranch_execz .LBB0_17
; %bb.16:
	ds_read_b128 v[8:11], v137 offset:1408
	ds_read_b128 v[0:3], v137 offset:2992
	;; [unrolled: 1-line block ×4, first 2 shown]
.LBB0_17:
	s_or_b32 exec_lo, exec_lo, s1
	v_mul_u32_u24_e32 v48, 3, v136
	v_lshlrev_b32_e32 v60, 4, v48
	s_clause 0x1
	global_load_dwordx4 v[48:51], v60, s[12:13] offset:1424
	global_load_dwordx4 v[56:59], v60, s[12:13] offset:1408
	v_add_co_u32 v61, s1, s12, v60
	v_add_co_ci_u32_e64 v62, null, s13, 0, s1
	v_add_co_u32 v64, s1, 0x800, v61
	v_add_co_ci_u32_e64 v65, s1, 0, v62, s1
	v_add_co_u32 v72, s1, 0xdc0, v61
	v_add_co_ci_u32_e64 v73, s1, 0, v62, s1
	s_clause 0x3
	global_load_dwordx4 v[60:63], v60, s[12:13] offset:1440
	global_load_dwordx4 v[64:67], v[64:65], off offset:1472
	global_load_dwordx4 v[68:71], v[72:73], off offset:16
	;; [unrolled: 1-line block ×3, first 2 shown]
	s_waitcnt vmcnt(0) lgkmcnt(0)
	s_barrier
	buffer_gl0_inv
	v_mul_f64 v[78:79], v[42:43], v[50:51]
	v_mul_f64 v[76:77], v[38:39], v[58:59]
	;; [unrolled: 1-line block ×12, first 2 shown]
	v_fma_f64 v[40:41], v[40:41], v[48:49], v[78:79]
	v_fma_f64 v[36:37], v[36:37], v[56:57], v[76:77]
	v_fma_f64 v[38:39], v[38:39], v[56:57], -v[58:59]
	v_fma_f64 v[42:43], v[42:43], v[48:49], -v[50:51]
	v_fma_f64 v[44:45], v[44:45], v[60:61], v[80:81]
	v_fma_f64 v[46:47], v[46:47], v[60:61], -v[62:63]
	v_fma_f64 v[24:25], v[24:25], v[64:65], v[82:83]
	;; [unrolled: 2-line block ×4, first 2 shown]
	v_fma_f64 v[34:35], v[34:35], v[72:73], -v[74:75]
	v_add_f64 v[40:41], v[16:17], -v[40:41]
	v_add_f64 v[42:43], v[18:19], -v[42:43]
	;; [unrolled: 1-line block ×8, first 2 shown]
	v_fma_f64 v[16:17], v[16:17], 2.0, -v[40:41]
	v_fma_f64 v[56:57], v[18:19], 2.0, -v[42:43]
	;; [unrolled: 1-line block ×4, first 2 shown]
	v_add_f64 v[18:19], v[40:41], v[46:47]
	v_fma_f64 v[58:59], v[20:21], 2.0, -v[48:49]
	v_fma_f64 v[60:61], v[22:23], 2.0, -v[50:51]
	;; [unrolled: 1-line block ×4, first 2 shown]
	v_add_f64 v[20:21], v[42:43], -v[44:45]
	v_add_f64 v[22:23], v[48:49], v[30:31]
	v_add_f64 v[24:25], v[50:51], -v[28:29]
	v_add_f64 v[26:27], v[16:17], -v[32:33]
	;; [unrolled: 1-line block ×3, first 2 shown]
	v_fma_f64 v[34:35], v[40:41], 2.0, -v[18:19]
	v_add_f64 v[30:31], v[58:59], -v[36:37]
	v_add_f64 v[32:33], v[60:61], -v[38:39]
	v_fma_f64 v[36:37], v[42:43], 2.0, -v[20:21]
	v_fma_f64 v[38:39], v[48:49], 2.0, -v[22:23]
	;; [unrolled: 1-line block ×5, first 2 shown]
	v_mov_b32_e32 v17, 0
	v_fma_f64 v[46:47], v[58:59], 2.0, -v[30:31]
	v_fma_f64 v[48:49], v[60:61], 2.0, -v[32:33]
	ds_write_b128 v137, v[18:21] offset:4752
	ds_write_b128 v137, v[34:37] offset:1584
	;; [unrolled: 1-line block ×5, first 2 shown]
	ds_write_b128 v137, v[42:45]
	ds_write_b128 v137, v[46:49] offset:704
	ds_write_b128 v137, v[22:25] offset:5456
	s_and_saveexec_b32 s1, s0
	s_cbranch_execz .LBB0_19
; %bb.18:
	v_add_nc_u32_e32 v16, 0x58, v136
	v_add_nc_u32_e32 v18, -11, v136
	v_cndmask_b32_e64 v16, v18, v16, s0
	v_mul_i32_i24_e32 v16, 3, v16
	v_lshlrev_b64 v[16:17], 4, v[16:17]
	v_add_co_u32 v24, s0, s12, v16
	v_add_co_ci_u32_e64 v25, s0, s13, v17, s0
	s_clause 0x2
	global_load_dwordx4 v[16:19], v[24:25], off offset:1424
	global_load_dwordx4 v[20:23], v[24:25], off offset:1408
	;; [unrolled: 1-line block ×3, first 2 shown]
	s_waitcnt vmcnt(2)
	v_mul_f64 v[28:29], v[4:5], v[18:19]
	s_waitcnt vmcnt(1)
	v_mul_f64 v[30:31], v[2:3], v[22:23]
	v_mul_f64 v[22:23], v[0:1], v[22:23]
	s_waitcnt vmcnt(0)
	v_mul_f64 v[32:33], v[12:13], v[26:27]
	v_mul_f64 v[18:19], v[6:7], v[18:19]
	;; [unrolled: 1-line block ×3, first 2 shown]
	v_fma_f64 v[6:7], v[6:7], v[16:17], -v[28:29]
	v_fma_f64 v[0:1], v[0:1], v[20:21], v[30:31]
	v_fma_f64 v[2:3], v[2:3], v[20:21], -v[22:23]
	v_fma_f64 v[14:15], v[14:15], v[24:25], -v[32:33]
	v_fma_f64 v[4:5], v[4:5], v[16:17], v[18:19]
	v_fma_f64 v[12:13], v[12:13], v[24:25], v[26:27]
	v_add_f64 v[16:17], v[10:11], -v[6:7]
	v_add_f64 v[6:7], v[2:3], -v[14:15]
	;; [unrolled: 1-line block ×4, first 2 shown]
	v_fma_f64 v[12:13], v[10:11], 2.0, -v[16:17]
	v_fma_f64 v[10:11], v[2:3], 2.0, -v[6:7]
	;; [unrolled: 1-line block ×4, first 2 shown]
	v_add_f64 v[2:3], v[16:17], -v[4:5]
	v_add_f64 v[0:1], v[14:15], v[6:7]
	v_add_f64 v[6:7], v[12:13], -v[10:11]
	v_add_f64 v[4:5], v[18:19], -v[8:9]
	v_fma_f64 v[10:11], v[16:17], 2.0, -v[2:3]
	v_fma_f64 v[8:9], v[14:15], 2.0, -v[0:1]
	;; [unrolled: 1-line block ×4, first 2 shown]
	ds_write_b128 v137, v[8:11] offset:2992
	ds_write_b128 v137, v[4:7] offset:4576
	;; [unrolled: 1-line block ×4, first 2 shown]
.LBB0_19:
	s_or_b32 exec_lo, exec_lo, s1
	s_waitcnt lgkmcnt(0)
	s_barrier
	buffer_gl0_inv
	s_and_saveexec_b32 s0, vcc_lo
	s_cbranch_execz .LBB0_21
; %bb.20:
	v_mul_lo_u32 v4, s5, v54
	v_mul_lo_u32 v5, s4, v55
	v_mad_u64_u32 v[0:1], null, s4, v54, 0
	v_add_nc_u32_e32 v6, 44, v136
	v_mad_u64_u32 v[2:3], null, s2, v136, 0
	v_add_nc_u32_e32 v7, 0x58, v136
	v_add_nc_u32_e32 v13, 0x84, v136
	v_mad_u64_u32 v[8:9], null, s2, v6, 0
	v_add3_u32 v1, v1, v5, v4
	v_mad_u64_u32 v[10:11], null, s2, v7, 0
	v_mad_u64_u32 v[3:4], null, s3, v136, v[3:4]
	v_lshlrev_b64 v[0:1], 4, v[0:1]
	v_mov_b32_e32 v4, v9
	v_mad_u64_u32 v[16:17], null, s2, v13, 0
	v_add_nc_u32_e32 v26, 0xb0, v136
	v_lshl_add_u32 v30, v136, 4, 0
	v_add_co_u32 v9, vcc_lo, s10, v0
	v_add_co_ci_u32_e32 v12, vcc_lo, s11, v1, vcc_lo
	v_lshlrev_b64 v[0:1], 4, v[52:53]
	v_mad_u64_u32 v[4:5], null, s3, v6, v[4:5]
	v_mad_u64_u32 v[20:21], null, s2, v26, 0
	v_add_nc_u32_e32 v29, 0xdc, v136
	v_add_co_u32 v31, vcc_lo, v9, v0
	v_add_co_ci_u32_e32 v32, vcc_lo, v12, v1, vcc_lo
	v_lshlrev_b64 v[0:1], 4, v[2:3]
	v_mov_b32_e32 v2, v11
	v_mov_b32_e32 v9, v4
	v_mad_u64_u32 v[11:12], null, s3, v7, v[2:3]
	v_mov_b32_e32 v12, v17
	v_lshlrev_b64 v[8:9], 4, v[8:9]
	v_add_co_u32 v18, vcc_lo, v31, v0
	v_add_co_ci_u32_e32 v19, vcc_lo, v32, v1, vcc_lo
	v_mad_u64_u32 v[12:13], null, s3, v13, v[12:13]
	v_add_co_u32 v22, vcc_lo, v31, v8
	ds_read_b128 v[0:3], v30
	ds_read_b128 v[4:7], v30 offset:704
	v_add_co_ci_u32_e32 v23, vcc_lo, v32, v9, vcc_lo
	v_lshlrev_b64 v[24:25], 4, v[10:11]
	v_mov_b32_e32 v17, v12
	ds_read_b128 v[8:11], v30 offset:1408
	ds_read_b128 v[12:15], v30 offset:2112
	v_mad_u64_u32 v[26:27], null, s3, v26, v[21:22]
	v_mad_u64_u32 v[27:28], null, s2, v29, 0
	v_lshlrev_b64 v[16:17], 4, v[16:17]
	v_add_co_u32 v24, vcc_lo, v31, v24
	v_add_co_ci_u32_e32 v25, vcc_lo, v32, v25, vcc_lo
	v_mov_b32_e32 v21, v26
	v_add_co_u32 v16, vcc_lo, v31, v16
	v_add_co_ci_u32_e32 v17, vcc_lo, v32, v17, vcc_lo
	s_waitcnt lgkmcnt(3)
	global_store_dwordx4 v[18:19], v[0:3], off
	v_lshlrev_b64 v[1:2], 4, v[20:21]
	s_waitcnt lgkmcnt(2)
	global_store_dwordx4 v[22:23], v[4:7], off
	s_waitcnt lgkmcnt(1)
	global_store_dwordx4 v[24:25], v[8:11], off
	;; [unrolled: 2-line block ×3, first 2 shown]
	v_mov_b32_e32 v0, v28
	v_add_nc_u32_e32 v5, 0x108, v136
	v_add_nc_u32_e32 v14, 0x134, v136
	;; [unrolled: 1-line block ×3, first 2 shown]
	v_add_co_u32 v22, vcc_lo, v31, v1
	v_mad_u64_u32 v[3:4], null, s3, v29, v[0:1]
	v_mad_u64_u32 v[8:9], null, s2, v5, 0
	;; [unrolled: 1-line block ×4, first 2 shown]
	v_mov_b32_e32 v28, v3
	v_add_co_ci_u32_e32 v23, vcc_lo, v32, v2, vcc_lo
	v_mov_b32_e32 v0, v9
	v_lshlrev_b64 v[11:12], 4, v[27:28]
	v_mov_b32_e32 v13, v25
	v_mad_u64_u32 v[9:10], null, s3, v5, v[0:1]
	v_mov_b32_e32 v10, v21
	ds_read_b128 v[0:3], v30 offset:2816
	ds_read_b128 v[4:7], v30 offset:3520
	v_mad_u64_u32 v[14:15], null, s3, v14, v[10:11]
	v_lshlrev_b64 v[28:29], 4, v[8:9]
	v_mad_u64_u32 v[25:26], null, s3, v16, v[13:14]
	v_add_co_u32 v26, vcc_lo, v31, v11
	v_add_co_ci_u32_e32 v27, vcc_lo, v32, v12, vcc_lo
	v_mov_b32_e32 v21, v14
	ds_read_b128 v[8:11], v30 offset:4224
	ds_read_b128 v[12:15], v30 offset:4928
	ds_read_b128 v[16:19], v30 offset:5632
	v_add_co_u32 v28, vcc_lo, v31, v28
	v_lshlrev_b64 v[24:25], 4, v[24:25]
	v_lshlrev_b64 v[20:21], 4, v[20:21]
	v_add_co_ci_u32_e32 v29, vcc_lo, v32, v29, vcc_lo
	v_add_co_u32 v20, vcc_lo, v31, v20
	v_add_co_ci_u32_e32 v21, vcc_lo, v32, v21, vcc_lo
	v_add_co_u32 v24, vcc_lo, v31, v24
	v_add_co_ci_u32_e32 v25, vcc_lo, v32, v25, vcc_lo
	s_waitcnt lgkmcnt(4)
	global_store_dwordx4 v[22:23], v[0:3], off
	s_waitcnt lgkmcnt(3)
	global_store_dwordx4 v[26:27], v[4:7], off
	;; [unrolled: 2-line block ×5, first 2 shown]
.LBB0_21:
	s_endpgm
	.section	.rodata,"a",@progbits
	.p2align	6, 0x0
	.amdhsa_kernel fft_rtc_back_len396_factors_11_9_4_wgs_44_tpt_44_dp_op_CI_CI_sbrr_dirReg
		.amdhsa_group_segment_fixed_size 0
		.amdhsa_private_segment_fixed_size 0
		.amdhsa_kernarg_size 104
		.amdhsa_user_sgpr_count 6
		.amdhsa_user_sgpr_private_segment_buffer 1
		.amdhsa_user_sgpr_dispatch_ptr 0
		.amdhsa_user_sgpr_queue_ptr 0
		.amdhsa_user_sgpr_kernarg_segment_ptr 1
		.amdhsa_user_sgpr_dispatch_id 0
		.amdhsa_user_sgpr_flat_scratch_init 0
		.amdhsa_user_sgpr_private_segment_size 0
		.amdhsa_wavefront_size32 1
		.amdhsa_uses_dynamic_stack 0
		.amdhsa_system_sgpr_private_segment_wavefront_offset 0
		.amdhsa_system_sgpr_workgroup_id_x 1
		.amdhsa_system_sgpr_workgroup_id_y 0
		.amdhsa_system_sgpr_workgroup_id_z 0
		.amdhsa_system_sgpr_workgroup_info 0
		.amdhsa_system_vgpr_workitem_id 0
		.amdhsa_next_free_vgpr 160
		.amdhsa_next_free_sgpr 38
		.amdhsa_reserve_vcc 1
		.amdhsa_reserve_flat_scratch 0
		.amdhsa_float_round_mode_32 0
		.amdhsa_float_round_mode_16_64 0
		.amdhsa_float_denorm_mode_32 3
		.amdhsa_float_denorm_mode_16_64 3
		.amdhsa_dx10_clamp 1
		.amdhsa_ieee_mode 1
		.amdhsa_fp16_overflow 0
		.amdhsa_workgroup_processor_mode 1
		.amdhsa_memory_ordered 1
		.amdhsa_forward_progress 0
		.amdhsa_shared_vgpr_count 0
		.amdhsa_exception_fp_ieee_invalid_op 0
		.amdhsa_exception_fp_denorm_src 0
		.amdhsa_exception_fp_ieee_div_zero 0
		.amdhsa_exception_fp_ieee_overflow 0
		.amdhsa_exception_fp_ieee_underflow 0
		.amdhsa_exception_fp_ieee_inexact 0
		.amdhsa_exception_int_div_zero 0
	.end_amdhsa_kernel
	.text
.Lfunc_end0:
	.size	fft_rtc_back_len396_factors_11_9_4_wgs_44_tpt_44_dp_op_CI_CI_sbrr_dirReg, .Lfunc_end0-fft_rtc_back_len396_factors_11_9_4_wgs_44_tpt_44_dp_op_CI_CI_sbrr_dirReg
                                        ; -- End function
	.section	.AMDGPU.csdata,"",@progbits
; Kernel info:
; codeLenInByte = 8420
; NumSgprs: 40
; NumVgprs: 160
; ScratchSize: 0
; MemoryBound: 0
; FloatMode: 240
; IeeeMode: 1
; LDSByteSize: 0 bytes/workgroup (compile time only)
; SGPRBlocks: 4
; VGPRBlocks: 19
; NumSGPRsForWavesPerEU: 40
; NumVGPRsForWavesPerEU: 160
; Occupancy: 6
; WaveLimiterHint : 1
; COMPUTE_PGM_RSRC2:SCRATCH_EN: 0
; COMPUTE_PGM_RSRC2:USER_SGPR: 6
; COMPUTE_PGM_RSRC2:TRAP_HANDLER: 0
; COMPUTE_PGM_RSRC2:TGID_X_EN: 1
; COMPUTE_PGM_RSRC2:TGID_Y_EN: 0
; COMPUTE_PGM_RSRC2:TGID_Z_EN: 0
; COMPUTE_PGM_RSRC2:TIDIG_COMP_CNT: 0
	.text
	.p2alignl 6, 3214868480
	.fill 48, 4, 3214868480
	.type	__hip_cuid_1d4165c410c5be22,@object ; @__hip_cuid_1d4165c410c5be22
	.section	.bss,"aw",@nobits
	.globl	__hip_cuid_1d4165c410c5be22
__hip_cuid_1d4165c410c5be22:
	.byte	0                               ; 0x0
	.size	__hip_cuid_1d4165c410c5be22, 1

	.ident	"AMD clang version 19.0.0git (https://github.com/RadeonOpenCompute/llvm-project roc-6.4.0 25133 c7fe45cf4b819c5991fe208aaa96edf142730f1d)"
	.section	".note.GNU-stack","",@progbits
	.addrsig
	.addrsig_sym __hip_cuid_1d4165c410c5be22
	.amdgpu_metadata
---
amdhsa.kernels:
  - .args:
      - .actual_access:  read_only
        .address_space:  global
        .offset:         0
        .size:           8
        .value_kind:     global_buffer
      - .offset:         8
        .size:           8
        .value_kind:     by_value
      - .actual_access:  read_only
        .address_space:  global
        .offset:         16
        .size:           8
        .value_kind:     global_buffer
      - .actual_access:  read_only
        .address_space:  global
        .offset:         24
        .size:           8
        .value_kind:     global_buffer
      - .actual_access:  read_only
        .address_space:  global
        .offset:         32
        .size:           8
        .value_kind:     global_buffer
      - .offset:         40
        .size:           8
        .value_kind:     by_value
      - .actual_access:  read_only
        .address_space:  global
        .offset:         48
        .size:           8
        .value_kind:     global_buffer
      - .actual_access:  read_only
        .address_space:  global
        .offset:         56
        .size:           8
        .value_kind:     global_buffer
      - .offset:         64
        .size:           4
        .value_kind:     by_value
      - .actual_access:  read_only
        .address_space:  global
        .offset:         72
        .size:           8
        .value_kind:     global_buffer
      - .actual_access:  read_only
        .address_space:  global
        .offset:         80
        .size:           8
        .value_kind:     global_buffer
      - .actual_access:  read_only
        .address_space:  global
        .offset:         88
        .size:           8
        .value_kind:     global_buffer
      - .actual_access:  write_only
        .address_space:  global
        .offset:         96
        .size:           8
        .value_kind:     global_buffer
    .group_segment_fixed_size: 0
    .kernarg_segment_align: 8
    .kernarg_segment_size: 104
    .language:       OpenCL C
    .language_version:
      - 2
      - 0
    .max_flat_workgroup_size: 44
    .name:           fft_rtc_back_len396_factors_11_9_4_wgs_44_tpt_44_dp_op_CI_CI_sbrr_dirReg
    .private_segment_fixed_size: 0
    .sgpr_count:     40
    .sgpr_spill_count: 0
    .symbol:         fft_rtc_back_len396_factors_11_9_4_wgs_44_tpt_44_dp_op_CI_CI_sbrr_dirReg.kd
    .uniform_work_group_size: 1
    .uses_dynamic_stack: false
    .vgpr_count:     160
    .vgpr_spill_count: 0
    .wavefront_size: 32
    .workgroup_processor_mode: 1
amdhsa.target:   amdgcn-amd-amdhsa--gfx1030
amdhsa.version:
  - 1
  - 2
...

	.end_amdgpu_metadata
